;; amdgpu-corpus repo=ROCm/bitsandbytes kind=harvested arch=n/a opt=n/a
	.text
	.amdgcn_target "amdgcn-amd-amdhsa--gfx90a"
	.amdhsa_code_object_version 6
	.protected	_Z35kOptimizerStatic8bit2StateBlockwiseI6__halfLi6ELi256ELi1EEvPT_S2_PhS3_fffffifPfS4_S4_S4_ffbi ; -- Begin function _Z35kOptimizerStatic8bit2StateBlockwiseI6__halfLi6ELi256ELi1EEvPT_S2_PhS3_fffffifPfS4_S4_S4_ffbi
	.globl	_Z35kOptimizerStatic8bit2StateBlockwiseI6__halfLi6ELi256ELi1EEvPT_S2_PhS3_fffffifPfS4_S4_S4_ffbi
	.p2align	8
	.type	_Z35kOptimizerStatic8bit2StateBlockwiseI6__halfLi6ELi256ELi1EEvPT_S2_PhS3_fffffifPfS4_S4_S4_ffbi,@function
_Z35kOptimizerStatic8bit2StateBlockwiseI6__halfLi6ELi256ELi1EEvPT_S2_PhS3_fffffifPfS4_S4_S4_ffbi: ; @_Z35kOptimizerStatic8bit2StateBlockwiseI6__halfLi6ELi256ELi1EEvPT_S2_PhS3_fffffifPfS4_S4_S4_ffbi
; %bb.0:
	s_load_dwordx4 s[0:3], s[4:5], 0x40
	s_load_dword s7, s[4:5], 0x70
	v_lshlrev_b32_e32 v1, 2, v0
	s_lshl_b32 s14, s6, 8
	s_waitcnt lgkmcnt(0)
	global_load_dword v2, v1, s[0:1]
	global_load_dword v3, v1, s[2:3]
	s_lshl_b32 s33, s7, 8
	s_cmp_ge_u32 s14, s33
	s_waitcnt vmcnt(1)
	ds_write_b32 v1, v2
	s_waitcnt vmcnt(0)
	ds_write_b32 v1, v3 offset:2064
	ds_write_b32 v1, v2 offset:1028
	;; [unrolled: 1-line block ×3, first 2 shown]
	s_waitcnt lgkmcnt(0)
	s_barrier
	s_cbranch_scc1 .LBB166_80
; %bb.1:
	s_load_dwordx8 s[16:23], s[4:5], 0x0
	s_load_dwordx8 s[24:31], s[4:5], 0x20
	s_load_dwordx4 s[36:39], s[4:5], 0x50
	s_load_dwordx2 s[34:35], s[4:5], 0x60
	v_and_b32_e32 v3, 1, v0
	s_movk_i32 s42, 0x404
	s_waitcnt lgkmcnt(0)
	v_cvt_f32_i32_e32 v12, s29
	v_cmp_neq_f32_e64 vcc, s25, 1.0
	v_mov_b32_e32 v10, s25
	v_mul_u32_u24_e32 v5, 0x404, v3
	v_cndmask_b32_e32 v14, 1.0, v12, vcc
	v_cmp_eq_f32_e32 vcc, 0, v14
	v_mov_b32_e32 v1, 0x810
	v_cndmask_b32_e64 v2, v10, 1.0, vcc
	v_mad_u32_u24 v13, v3, s42, v1
	v_add_u32_e32 v1, 12, v5
	v_cmp_eq_f32_e64 s[0:1], 0, v2
	v_cmp_gt_f32_e64 s[2:3], 0, v14
	ds_read2st64_b32 v[8:9], v1 offset0:9 offset1:10
	v_cndmask_b32_e64 v15, |v10|, 1.0, vcc
	s_mov_b32 s29, 0x7f800000
	v_mov_b32_e32 v1, 0x7f800000
	s_xor_b64 s[2:3], s[2:3], s[0:1]
	v_trunc_f32_e32 v16, v14
	v_cmp_eq_f32_e32 vcc, s29, v15
	v_cndmask_b32_e64 v4, v1, 0, s[2:3]
	v_cmp_eq_f32_e64 s[2:3], v16, v14
	v_cvt_f64_f32_e32 v[16:17], v15
	v_frexp_mant_f32_e32 v15, v15
	s_mov_b32 s41, 0x3f2aaaab
	v_frexp_exp_i32_f64_e32 v16, v[16:17]
	v_cmp_gt_f32_e64 s[8:9], s41, v15
	s_load_dword s31, s[4:5], 0x6c
                                        ; kill: killed $sgpr4_sgpr5
	v_mul_f32_e32 v18, 0.5, v14
	v_subbrev_co_u32_e64 v16, s[4:5], 0, v16, s[8:9]
	v_cvt_f32_i32_e32 v17, v16
	v_trunc_f32_e32 v16, v18
	v_cmp_neq_f32_e64 s[4:5], v16, v18
	v_cndmask_b32_e64 v18, 1.0, 2.0, s[8:9]
	v_mul_f32_e32 v15, v15, v18
	v_add_f32_e32 v19, 1.0, v15
	v_rcp_f32_e32 v28, v19
	s_mov_b32 s40, 0x3f317218
	v_mul_f32_e32 v16, 0x3f317218, v17
	v_fma_f32 v18, v17, s40, -v16
	v_add_f32_e32 v21, -1.0, v15
	v_fmac_f32_e32 v18, 0xb102e308, v17
	v_mul_f32_e32 v17, v21, v28
	v_mul_f32_e32 v22, v19, v17
	v_add_f32_e32 v20, -1.0, v19
	v_sub_f32_e32 v15, v15, v20
	v_fma_f32 v24, v17, v19, -v22
	v_fmac_f32_e32 v24, v17, v15
	v_add_f32_e32 v20, v22, v24
	v_sub_f32_e32 v23, v21, v20
	v_pk_add_f32 v[26:27], v[20:21], v[22:23] neg_lo:[0,1] neg_hi:[0,1]
	v_mov_b32_e32 v25, v20
	v_pk_add_f32 v[20:21], v[26:27], v[24:25] neg_lo:[0,1] neg_hi:[0,1]
	v_add_f32_e32 v15, v20, v21
	v_add_f32_e32 v15, v23, v15
	v_mul_f32_e32 v15, v28, v15
	v_add_f32_e32 v20, v17, v15
	v_sub_f32_e32 v17, v20, v17
	v_sub_f32_e32 v15, v15, v17
	v_mul_f32_e32 v19, v20, v20
	v_add_f32_e32 v17, v15, v15
	v_fma_f32 v21, v20, v20, -v19
	v_fmac_f32_e32 v21, v20, v17
	v_add_f32_e32 v22, v19, v21
	v_sub_f32_e32 v17, v22, v19
	v_mov_b32_e32 v19, 0x3e91f4c4
	v_fmac_f32_e32 v19, 0x3e76c4e1, v22
	v_mov_b32_e32 v32, 0x3ecccdef
	v_fma_f32 v19, v22, v19, v32
	v_sub_f32_e32 v17, v21, v17
	v_mul_f32_e32 v21, v22, v19
	v_fma_f32 v23, v22, v19, -v21
	v_fmac_f32_e32 v23, v17, v19
	v_add_f32_e32 v19, v21, v23
	v_sub_f32_e32 v21, v19, v21
	v_add_f32_e32 v25, 0x3f2aaaaa, v19
	v_sub_f32_e32 v21, v23, v21
	v_add_f32_e32 v23, 0xbf2aaaaa, v25
	v_add_f32_e32 v21, 0x31739010, v21
	v_sub_f32_e32 v23, v19, v23
	v_pk_mul_f32 v[26:27], v[20:21], v[22:23]
	v_fma_f32 v24, v22, v20, -v26
	v_pk_add_f32 v[28:29], v[20:21], v[22:23]
	v_fmac_f32_e32 v24, v22, v15
	v_mov_b32_e32 v27, v29
	v_fmac_f32_e32 v24, v17, v20
	v_pk_add_f32 v[22:23], v[26:27], v[24:25]
	v_mov_b32_e32 v28, v23
	v_pk_mul_f32 v[30:31], v[22:23], v[28:29]
	v_sub_f32_e32 v17, v22, v26
	v_sub_f32_e32 v19, v25, v23
	;; [unrolled: 1-line block ×3, first 2 shown]
	v_add_f32_e32 v19, v29, v19
	v_fma_f32 v24, v22, v23, -v30
	v_fmac_f32_e32 v24, v22, v19
	v_fmac_f32_e32 v24, v17, v23
	v_add_f32_e32 v17, v30, v24
	v_ldexp_f32 v19, v20, 1
	v_pk_add_f32 v[20:21], v[16:17], v[18:19]
	v_mov_b32_e32 v26, v17
	v_mov_b32_e32 v27, v21
	;; [unrolled: 1-line block ×4, first 2 shown]
	v_pk_add_f32 v[26:27], v[26:27], v[30:31] neg_lo:[0,1] neg_hi:[0,1]
	v_ldexp_f32 v15, v15, 1
	v_pk_add_f32 v[24:25], v[24:25], v[26:27] neg_lo:[0,1] neg_hi:[0,1]
	v_add_f32_e32 v15, v15, v24
	v_add_f32_e32 v17, v15, v25
	v_pk_add_f32 v[24:25], v[20:21], v[16:17] neg_lo:[0,1] neg_hi:[0,1]
	v_pk_add_f32 v[26:27], v[20:21], v[16:17]
	v_mov_b32_e32 v23, v20
	v_mov_b32_e32 v28, v24
	;; [unrolled: 1-line block ×3, first 2 shown]
	v_pk_add_f32 v[28:29], v[22:23], v[28:29]
	v_mov_b32_e32 v16, v29
	v_pk_add_f32 v[18:19], v[18:19], v[24:25] neg_lo:[0,1] neg_hi:[0,1]
	v_pk_add_f32 v[24:25], v[16:17], v[20:21] neg_lo:[0,1] neg_hi:[0,1]
	v_mov_b32_e32 v15, v24
	v_mov_b32_e32 v28, v27
	;; [unrolled: 1-line block ×4, first 2 shown]
	v_pk_add_f32 v[30:31], v[26:27], v[14:15] neg_lo:[0,1] neg_hi:[0,1]
	v_mov_b32_e32 v22, v17
	v_pk_add_f32 v[20:21], v[28:29], v[20:21] neg_lo:[0,1] neg_hi:[0,1]
	v_mov_b32_e32 v30, v18
	v_pk_add_f32 v[20:21], v[22:23], v[20:21] neg_lo:[0,1] neg_hi:[0,1]
	v_pk_add_f32 v[22:23], v[30:31], v[20:21]
	v_mov_b32_e32 v24, v23
	v_pk_add_f32 v[24:25], v[22:23], v[24:25]
	v_pk_add_f32 v[16:17], v[16:17], v[24:25]
	v_mov_b32_e32 v19, v29
	v_mov_b32_e32 v23, v16
	;; [unrolled: 1-line block ×3, first 2 shown]
	v_pk_add_f32 v[24:25], v[22:23], v[18:19] neg_lo:[0,1] neg_hi:[0,1]
	v_sub_f32_e32 v15, v22, v24
	v_pk_add_f32 v[20:21], v[20:21], v[24:25] neg_lo:[0,1] neg_hi:[0,1]
	v_sub_f32_e32 v15, v18, v15
	v_add_f32_e32 v15, v20, v15
	v_add_f32_e32 v15, v15, v21
	;; [unrolled: 1-line block ×3, first 2 shown]
	v_mul_f32_e32 v18, v14, v17
	v_sub_f32_e32 v16, v17, v16
	v_sub_f32_e32 v15, v15, v16
	v_fma_f32 v16, v14, v17, -v18
	s_movk_i32 s7, 0x204
	v_fmac_f32_e32 v16, v14, v15
	v_add_f32_e32 v14, v18, v16
	v_cmp_class_f32_e64 s[8:9], v18, s7
	v_cndmask_b32_e64 v15, v14, v18, s[8:9]
	s_mov_b32 s10, 0x42b17218
	v_mov_b32_e32 v34, 0x37000000
	v_cmp_eq_f32_e64 s[8:9], s10, v15
	v_cndmask_b32_e64 v17, 0, v34, s[8:9]
	v_sub_f32_e32 v19, v15, v17
	s_mov_b32 s12, 0x3fb8aa3b
	v_mul_f32_e32 v20, 0x3fb8aa3b, v19
	v_fma_f32 v21, v19, s12, -v20
	v_rndne_f32_e32 v22, v20
	v_fmac_f32_e32 v21, 0x32a5705f, v19
	v_sub_f32_e32 v20, v20, v22
	v_add_f32_e32 v20, v20, v21
	v_exp_f32_e32 v20, v20
	v_cvt_i32_f32_e32 v21, v22
	s_mov_b32 s13, 0xc2ce8ed0
	v_cmp_ngt_f32_e64 s[8:9], s13, v19
	v_sub_f32_e32 v14, v14, v18
	v_ldexp_f32 v20, v20, v21
	v_cndmask_b32_e64 v20, 0, v20, s[8:9]
	v_cmp_nlt_f32_e64 s[8:9], s10, v19
	v_cndmask_b32_e64 v19, v1, v20, s[8:9]
	v_sub_f32_e32 v14, v16, v14
	v_cmp_neq_f32_e64 s[8:9], |v15|, s29
	v_cndmask_b32_e64 v14, 0, v14, s[8:9]
	v_add_f32_e32 v14, v17, v14
	s_and_b64 s[4:5], s[2:3], s[4:5]
	v_fma_f32 v14, v19, v14, v19
	v_cmp_class_f32_e64 s[8:9], v19, s7
	s_brev_b32 s11, -2
	v_cndmask_b32_e64 v14, v14, v19, s[8:9]
	v_cndmask_b32_e64 v15, 1.0, v2, s[4:5]
	v_mov_b32_e32 v11, 0x7fc00000
	v_bfi_b32 v14, s11, v14, v15
	v_cndmask_b32_e64 v22, 0, v2, s[4:5]
	v_cndmask_b32_e64 v15, v11, v14, s[2:3]
	v_cmp_gt_f32_e64 s[2:3], 0, v2
	v_bfi_b32 v4, s11, v4, v22
	v_cndmask_b32_e64 v14, v14, v15, s[2:3]
	s_or_b64 vcc, vcc, s[0:1]
	v_cndmask_b32_e32 v4, v14, v4, vcc
	v_sub_f32_e32 v4, 1.0, v4
	v_cmp_o_f32_e32 vcc, v2, v2
	v_cndmask_b32_e32 v2, v11, v4, vcc
	s_mov_b32 s43, 0xf800000
	v_mul_f32_e32 v4, 0x4f800000, v2
	v_cmp_gt_f32_e32 vcc, s43, v2
	v_cndmask_b32_e32 v14, v2, v4, vcc
	v_sqrt_f32_e32 v15, v14
	v_mov_b32_e32 v19, 0x3e91f4c4
	ds_read2_b32 v[6:7], v5 offset0:63 offset1:127
	ds_read_b32 v2, v5 offset:764
	ds_read_b32 v4, v5 offset:2828
	v_add_u32_e32 v16, -1, v15
	v_fma_f32 v17, -v16, v15, v14
	v_cmp_ge_f32_e64 s[0:1], 0, v17
	v_add_u32_e32 v17, 1, v15
	v_cndmask_b32_e64 v16, v15, v16, s[0:1]
	v_fma_f32 v15, -v17, v15, v14
	v_cmp_lt_f32_e64 s[0:1], 0, v15
	v_cndmask_b32_e64 v15, v16, v17, s[0:1]
	v_mul_f32_e32 v16, 0x37800000, v15
	v_cndmask_b32_e32 v16, v15, v16, vcc
	v_mov_b32_e32 v15, 0x260
	v_cmp_class_f32_e32 vcc, v14, v15
	v_cndmask_b32_e32 v20, v16, v14, vcc
	v_cmp_neq_f32_e64 vcc, s24, 1.0
	v_cndmask_b32_e32 v35, 1.0, v12, vcc
	v_mov_b32_e32 v12, s24
	v_cmp_eq_f32_e32 vcc, 0, v35
	v_cndmask_b32_e64 v36, v12, 1.0, vcc
	v_cndmask_b32_e64 v12, |v12|, 1.0, vcc
	v_cmp_eq_f32_e64 s[0:1], 0, v36
	v_cmp_gt_f32_e64 s[2:3], 0, v35
	v_cmp_eq_f32_e32 vcc, s29, v12
	s_xor_b64 s[2:3], s[2:3], s[0:1]
	v_trunc_f32_e32 v14, v35
	v_cvt_f64_f32_e32 v[16:17], v12
	v_frexp_mant_f32_e32 v12, v12
	v_cndmask_b32_e64 v37, v1, 0, s[2:3]
	v_cmp_eq_f32_e64 s[2:3], v14, v35
	v_frexp_exp_i32_f64_e32 v14, v[16:17]
	v_cmp_gt_f32_e64 s[8:9], s41, v12
	v_mul_f32_e32 v16, 0.5, v35
	v_subbrev_co_u32_e64 v14, s[4:5], 0, v14, s[8:9]
	v_trunc_f32_e32 v17, v16
	v_cmp_neq_f32_e64 s[4:5], v17, v16
	v_cndmask_b32_e64 v17, 1.0, 2.0, s[8:9]
	v_cvt_f32_i32_e32 v14, v14
	v_mul_f32_e32 v12, v12, v17
	v_add_f32_e32 v17, 1.0, v12
	v_rcp_f32_e32 v21, v17
	v_mul_f32_e32 v16, 0x3f317218, v14
	v_fma_f32 v18, v14, s40, -v16
	v_add_f32_e32 v23, -1.0, v12
	v_fmac_f32_e32 v18, 0xb102e308, v14
	v_mul_f32_e32 v14, v23, v21
	v_mul_f32_e32 v24, v17, v14
	v_add_f32_e32 v22, -1.0, v17
	v_sub_f32_e32 v12, v12, v22
	v_fma_f32 v26, v14, v17, -v24
	v_fmac_f32_e32 v26, v14, v12
	v_add_f32_e32 v22, v24, v26
	v_sub_f32_e32 v25, v23, v22
	v_pk_add_f32 v[28:29], v[22:23], v[24:25] neg_lo:[0,1] neg_hi:[0,1]
	v_mov_b32_e32 v27, v22
	v_pk_add_f32 v[22:23], v[28:29], v[26:27] neg_lo:[0,1] neg_hi:[0,1]
	v_add_f32_e32 v12, v22, v23
	v_add_f32_e32 v12, v25, v12
	v_mul_f32_e32 v12, v21, v12
	v_add_f32_e32 v22, v14, v12
	v_sub_f32_e32 v14, v22, v14
	v_sub_f32_e32 v14, v12, v14
	v_mul_f32_e32 v17, v22, v22
	v_add_f32_e32 v12, v14, v14
	v_fma_f32 v21, v22, v22, -v17
	v_fmac_f32_e32 v21, v22, v12
	v_add_f32_e32 v24, v17, v21
	v_fmac_f32_e32 v19, 0x3e76c4e1, v24
	v_fmac_f32_e32 v32, v24, v19
	v_sub_f32_e32 v12, v24, v17
	v_mul_f32_e32 v17, v24, v32
	v_sub_f32_e32 v12, v21, v12
	v_fma_f32 v19, v24, v32, -v17
	v_fmac_f32_e32 v19, v12, v32
	v_add_f32_e32 v21, v17, v19
	v_sub_f32_e32 v17, v21, v17
	v_sub_f32_e32 v17, v19, v17
	v_add_f32_e32 v27, 0x3f2aaaaa, v21
	v_add_f32_e32 v23, 0x31739010, v17
	;; [unrolled: 1-line block ×3, first 2 shown]
	v_sub_f32_e32 v25, v21, v17
	v_pk_mul_f32 v[28:29], v[22:23], v[24:25]
	v_fma_f32 v26, v24, v22, -v28
	v_pk_add_f32 v[30:31], v[22:23], v[24:25]
	v_fmac_f32_e32 v26, v24, v14
	v_mov_b32_e32 v29, v31
	v_fmac_f32_e32 v26, v12, v22
	v_pk_add_f32 v[24:25], v[28:29], v[26:27]
	v_mov_b32_e32 v12, v25
	v_pk_mul_f32 v[32:33], v[24:25], v[12:13]
	v_sub_f32_e32 v12, v24, v28
	v_sub_f32_e32 v17, v27, v25
	;; [unrolled: 1-line block ×3, first 2 shown]
	v_add_f32_e32 v17, v31, v17
	v_fma_f32 v26, v24, v25, -v32
	v_fmac_f32_e32 v26, v24, v17
	v_fmac_f32_e32 v26, v12, v25
	v_add_f32_e32 v17, v32, v26
	v_ldexp_f32 v19, v22, 1
	v_pk_add_f32 v[22:23], v[16:17], v[18:19]
	v_mov_b32_e32 v28, v17
	v_mov_b32_e32 v29, v23
	v_mov_b32_e32 v33, v19
	v_mov_b32_e32 v27, v17
	v_pk_add_f32 v[28:29], v[28:29], v[32:33] neg_lo:[0,1] neg_hi:[0,1]
	v_ldexp_f32 v12, v14, 1
	v_pk_add_f32 v[26:27], v[26:27], v[28:29] neg_lo:[0,1] neg_hi:[0,1]
	v_add_f32_e32 v12, v12, v26
	v_add_f32_e32 v17, v12, v27
	v_pk_add_f32 v[26:27], v[22:23], v[16:17] neg_lo:[0,1] neg_hi:[0,1]
	v_pk_add_f32 v[28:29], v[22:23], v[16:17]
	v_mov_b32_e32 v25, v22
	v_mov_b32_e32 v30, v26
	;; [unrolled: 1-line block ×3, first 2 shown]
	v_pk_add_f32 v[30:31], v[24:25], v[30:31]
	v_mov_b32_e32 v12, v31
	v_pk_add_f32 v[18:19], v[18:19], v[26:27] neg_lo:[0,1] neg_hi:[0,1]
	v_pk_add_f32 v[26:27], v[12:13], v[22:23] neg_lo:[0,1] neg_hi:[0,1]
	v_mov_b32_e32 v21, v26
	v_mov_b32_e32 v24, v17
	;; [unrolled: 1-line block ×5, first 2 shown]
	v_pk_add_f32 v[32:33], v[28:29], v[20:21] neg_lo:[0,1] neg_hi:[0,1]
	v_pk_add_f32 v[16:17], v[30:31], v[16:17] neg_lo:[0,1] neg_hi:[0,1]
	v_mov_b32_e32 v32, v18
	v_pk_add_f32 v[16:17], v[24:25], v[16:17] neg_lo:[0,1] neg_hi:[0,1]
	v_pk_add_f32 v[22:23], v[32:33], v[16:17]
	v_mov_b32_e32 v14, v23
	v_pk_add_f32 v[24:25], v[22:23], v[14:15]
	v_pk_add_f32 v[26:27], v[12:13], v[24:25]
	v_mov_b32_e32 v19, v31
	v_mov_b32_e32 v23, v26
	v_mov_b32_e32 v17, v24
	v_pk_add_f32 v[24:25], v[22:23], v[18:19] neg_lo:[0,1] neg_hi:[0,1]
	v_sub_f32_e32 v12, v22, v24
	v_pk_add_f32 v[16:17], v[16:17], v[24:25] neg_lo:[0,1] neg_hi:[0,1]
	v_sub_f32_e32 v12, v18, v12
	v_add_f32_e32 v12, v16, v12
	v_add_f32_e32 v12, v12, v17
	;; [unrolled: 1-line block ×3, first 2 shown]
	v_mul_f32_e32 v16, v35, v14
	v_sub_f32_e32 v17, v14, v26
	v_sub_f32_e32 v12, v12, v17
	v_fma_f32 v14, v35, v14, -v16
	v_fmac_f32_e32 v14, v35, v12
	v_add_f32_e32 v12, v16, v14
	v_cmp_class_f32_e64 s[8:9], v16, s7
	v_cndmask_b32_e64 v17, v12, v16, s[8:9]
	v_cmp_eq_f32_e64 s[8:9], s10, v17
	v_cndmask_b32_e64 v18, 0, v34, s[8:9]
	v_sub_f32_e32 v19, v17, v18
	v_mul_f32_e32 v21, 0x3fb8aa3b, v19
	v_fma_f32 v22, v19, s12, -v21
	v_rndne_f32_e32 v23, v21
	v_fmac_f32_e32 v22, 0x32a5705f, v19
	v_sub_f32_e32 v21, v21, v23
	v_add_f32_e32 v21, v21, v22
	v_exp_f32_e32 v21, v21
	v_cvt_i32_f32_e32 v22, v23
	v_cmp_ngt_f32_e64 s[8:9], s13, v19
	v_sub_f32_e32 v12, v12, v16
	v_sub_f32_e32 v12, v14, v12
	v_ldexp_f32 v21, v21, v22
	v_cndmask_b32_e64 v21, 0, v21, s[8:9]
	v_cmp_nlt_f32_e64 s[8:9], s10, v19
	v_cndmask_b32_e64 v1, v1, v21, s[8:9]
	v_cmp_neq_f32_e64 s[8:9], |v17|, s29
	v_cndmask_b32_e64 v12, 0, v12, s[8:9]
	v_add_f32_e32 v12, v18, v12
	s_and_b64 s[4:5], s[2:3], s[4:5]
	v_fma_f32 v12, v1, v12, v1
	v_cmp_class_f32_e64 s[8:9], v1, s7
	v_cndmask_b32_e64 v1, v12, v1, s[8:9]
	v_cndmask_b32_e64 v12, 1.0, v36, s[4:5]
	v_bfi_b32 v1, s11, v1, v12
	v_cndmask_b32_e64 v23, 0, v36, s[4:5]
	v_cndmask_b32_e64 v12, v11, v1, s[2:3]
	v_cmp_gt_f32_e64 s[2:3], 0, v36
	v_bfi_b32 v23, s11, v37, v23
	v_cndmask_b32_e64 v1, v1, v12, s[2:3]
	s_or_b64 vcc, vcc, s[0:1]
	v_cndmask_b32_e32 v1, v1, v23, vcc
	v_sub_f32_e32 v1, 1.0, v1
	v_cmp_o_f32_e32 vcc, v36, v36
	v_cndmask_b32_e32 v21, v11, v1, vcc
	v_mbcnt_lo_u32_b32 v1, -1, 0
	v_mbcnt_hi_u32_b32 v12, -1, v1
	v_lshlrev_b32_e32 v1, 1, v12
	v_and_b32_e32 v14, 0xc0, v0
	v_mov_b32_e32 v11, s19
	v_add_co_u32_e32 v1, vcc, s18, v1
	v_addc_co_u32_e32 v11, vcc, 0, v11, vcc
	v_lshlrev_b32_e32 v16, 1, v14
	v_add_co_u32_e32 v24, vcc, v1, v16
	v_addc_co_u32_e32 v25, vcc, 0, v11, vcc
	v_and_b32_e32 v17, 3, v12
	v_cmp_ne_u32_e32 vcc, 3, v17
	v_add_u32_e32 v22, v12, v14
	v_mov_b32_e32 v1, 0x1020
	v_addc_co_u32_e32 v19, vcc, 0, v12, vcc
	v_lshl_add_u32 v26, v22, 1, v1
	v_bfrev_b32_e32 v1, 0.5
	v_cmp_gt_u32_e32 vcc, 2, v17
	v_lshl_or_b32 v28, v12, 2, v1
	v_lshrrev_b32_e32 v1, 4, v0
	v_lshlrev_b32_e32 v18, 2, v17
	v_cndmask_b32_e64 v17, 0, 1, vcc
	v_and_b32_e32 v1, 12, v1
	v_cmp_gt_u32_e64 s[2:3], 64, v0
	v_lshlrev_b32_e32 v17, 1, v17
	v_cmp_eq_u32_e64 s[4:5], 0, v0
	v_cmp_ne_u32_e64 s[12:13], 0, v0
	v_mov_b32_e32 v0, s34
	s_lshl_b32 s6, s6, 8
	s_mov_b32 s15, 0
	v_mov_b32_e32 v23, 0
	v_sub_f32_e64 v16, 1.0, s25
	v_sub_f32_e64 v11, 1.0, s24
	;; [unrolled: 1-line block ×3, first 2 shown]
	v_cmp_eq_u32_e64 s[0:1], 0, v12
	v_or_b32_e32 v29, 0x1220, v1
	v_or_b32_e32 v30, 0x1220, v18
	v_lshlrev_b32_e32 v31, 2, v19
	v_add_lshl_u32 v32, v17, v12, 2
	v_or_b32_e32 v33, 0x1230, v1
	v_or_b32_e32 v34, 0x1230, v18
	;; [unrolled: 1-line block ×4, first 2 shown]
	v_cmp_gt_f32_e64 s[18:19], s34, 0
	v_fma_f32 v37, -s30, v0, 1.0
	s_sub_i32 s25, 0, s6
	s_movk_i32 s34, 0x1f8
	v_mov_b32_e32 v38, 2
	v_mov_b32_e32 v39, 0xbf
	;; [unrolled: 1-line block ×3, first 2 shown]
	v_not_b32_e32 v41, 31
	v_mov_b32_e32 v42, 0xff
	s_branch .LBB166_3
.LBB166_2:                              ;   in Loop: Header=BB166_3 Depth=1
	s_or_b64 exec, exec, s[6:7]
	v_mov_b32_e32 v0, s33
	v_add_co_u32_e32 v0, vcc, s14, v0
	v_readfirstlane_b32 s14, v0
	s_andn2_b64 vcc, exec, vcc
	s_sub_i32 s25, s25, s33
	s_cbranch_vccnz .LBB166_80
.LBB166_3:                              ; =>This Inner Loop Header: Depth=1
	s_waitcnt lgkmcnt(0)
	s_add_i32 s6, s31, s25
	s_min_u32 s6, s6, 0x100
	v_cmp_gt_u32_e64 s[8:9], s6, v22
	v_mov_b32_e32 v0, 0
	s_barrier
	s_and_saveexec_b64 s[6:7], s[8:9]
	s_cbranch_execz .LBB166_5
; %bb.4:                                ;   in Loop: Header=BB166_3 Depth=1
	s_lshl_b64 s[10:11], s[14:15], 1
	v_mov_b32_e32 v1, s11
	v_add_co_u32_e32 v0, vcc, s10, v24
	v_addc_co_u32_e32 v1, vcc, v25, v1, vcc
	global_load_ushort v0, v[0:1], off
.LBB166_5:                              ;   in Loop: Header=BB166_3 Depth=1
	s_or_b64 exec, exec, s[6:7]
	s_waitcnt vmcnt(0)
	ds_write_b16 v26, v0
	; wave barrier
	ds_read_u16 v44, v26
	s_add_u32 s44, s20, s14
	s_addc_u32 s45, s21, 0
	v_mov_b32_e32 v0, 0x80
	s_waitcnt lgkmcnt(0)
	s_barrier
	s_and_saveexec_b64 s[6:7], s[8:9]
	s_cbranch_execz .LBB166_7
; %bb.6:                                ;   in Loop: Header=BB166_3 Depth=1
	v_mov_b32_e32 v0, s45
	v_add_co_u32_e32 v1, vcc, s44, v12
	v_addc_co_u32_e32 v17, vcc, 0, v0, vcc
	v_add_co_u32_e32 v0, vcc, v1, v14
	v_addc_co_u32_e32 v1, vcc, 0, v17, vcc
	global_load_ubyte v0, v[0:1], off
.LBB166_7:                              ;   in Loop: Header=BB166_3 Depth=1
	s_or_b64 exec, exec, s[6:7]
	s_waitcnt vmcnt(0)
	ds_write_b8 v22, v0 offset:4128
	; wave barrier
	ds_read_u8 v18, v22 offset:4128
	s_add_u32 s47, s22, s14
	s_addc_u32 s49, s23, 0
	v_mov_b32_e32 v0, 0
	s_waitcnt lgkmcnt(0)
	s_barrier
	s_and_saveexec_b64 s[6:7], s[8:9]
	s_cbranch_execz .LBB166_9
; %bb.8:                                ;   in Loop: Header=BB166_3 Depth=1
	v_mov_b32_e32 v0, s49
	v_add_co_u32_e32 v1, vcc, s47, v12
	v_addc_co_u32_e32 v17, vcc, 0, v0, vcc
	v_add_co_u32_e32 v0, vcc, v1, v14
	v_addc_co_u32_e32 v1, vcc, 0, v17, vcc
	global_load_ubyte v0, v[0:1], off
.LBB166_9:                              ;   in Loop: Header=BB166_3 Depth=1
	s_or_b64 exec, exec, s[6:7]
	s_waitcnt vmcnt(0)
	ds_write_b8 v22, v0 offset:4128
	; wave barrier
	ds_read_u8 v43, v22 offset:4128
	s_add_i32 s10, s31, s14
	s_add_u32 s46, s20, s10
	s_addc_u32 s48, s21, 0
	v_mov_b32_e32 v0, 0x80
	s_waitcnt lgkmcnt(0)
	s_barrier
	s_and_saveexec_b64 s[6:7], s[8:9]
	s_cbranch_execz .LBB166_11
; %bb.10:                               ;   in Loop: Header=BB166_3 Depth=1
	v_mov_b32_e32 v0, s48
	v_add_co_u32_e32 v1, vcc, s46, v12
	v_addc_co_u32_e32 v17, vcc, 0, v0, vcc
	v_add_co_u32_e32 v0, vcc, v1, v14
	v_addc_co_u32_e32 v1, vcc, 0, v17, vcc
	global_load_ubyte v0, v[0:1], off
.LBB166_11:                             ;   in Loop: Header=BB166_3 Depth=1
	s_or_b64 exec, exec, s[6:7]
	v_cvt_f32_f16_e32 v19, v44
	v_cmp_o_f16_e32 vcc, v44, v44
	s_waitcnt vmcnt(0)
	ds_write_b8 v22, v0 offset:4128
	v_mov_b32_e32 v17, 0
	v_cmp_neq_f32_e64 s[6:7], |v19|, s29
	s_and_b64 s[40:41], vcc, s[6:7]
	v_mov_b32_e32 v0, 0
	v_mov_b32_e32 v1, 0
	; wave barrier
	s_and_saveexec_b64 s[6:7], s[40:41]
	s_cbranch_execz .LBB166_13
; %bb.12:                               ;   in Loop: Header=BB166_3 Depth=1
	s_lshr_b32 s40, s14, 6
	s_lshr_b32 s11, s10, 6
	v_mov_b32_e32 v1, s40
	s_and_b32 s11, s11, 0x3fffffc
	global_load_dword v0, v1, s[38:39]
	v_mov_b32_e32 v17, s11
	global_load_dword v45, v17, s[36:37]
	global_load_dword v47, v1, s[36:37]
	v_lshlrev_b32_sdwa v1, v38, v18 dst_sel:DWORD dst_unused:UNUSED_PAD src0_sel:DWORD src1_sel:BYTE_0
	ds_read_u8 v18, v22 offset:4128
	v_lshlrev_b32_sdwa v17, v38, v43 dst_sel:DWORD dst_unused:UNUSED_PAD src0_sel:DWORD src1_sel:BYTE_0
	v_mad_u32_u24 v1, v3, s42, v1
	v_mad_u32_u24 v43, v3, s42, v17
	ds_read_b32 v17, v1
	s_waitcnt lgkmcnt(1)
	v_lshlrev_b32_e32 v1, 2, v18
	ds_read_b32 v18, v43 offset:2064
	v_mad_u32_u24 v1, v3, s42, v1
	ds_read_b32 v43, v1
	v_mov_b32_e32 v1, s35
	s_waitcnt vmcnt(2) lgkmcnt(1)
	v_pk_mul_f32 v[18:19], v[18:19], v[0:1]
	v_mov_b32_e32 v46, v19
	s_waitcnt vmcnt(1) lgkmcnt(0)
	v_mul_f32_e32 v43, v43, v45
	s_waitcnt vmcnt(0)
	v_pk_mul_f32 v[0:1], v[16:17], v[46:47]
	v_mov_b32_e32 v47, s24
	v_mul_f32_e32 v17, s26, v43
	v_pk_mul_f32 v[0:1], v[0:1], v[46:47]
	v_pk_fma_f32 v[0:1], v[10:11], v[18:19], v[0:1]
	v_fmac_f32_e32 v17, v27, v19
.LBB166_13:                             ;   in Loop: Header=BB166_3 Depth=1
	s_or_b64 exec, exec, s[6:7]
	v_max_f32_e64 v18, |v1|, |v1|
	v_max_f32_e32 v18, 0xff7fffff, v18
	s_nop 1
	v_mov_b32_dpp v19, v18 quad_perm:[1,0,3,2] row_mask:0xf bank_mask:0xf
	v_cmp_gt_f32_e32 vcc, v18, v19
	v_cndmask_b32_e32 v18, v19, v18, vcc
	s_nop 1
	v_mov_b32_dpp v19, v18 quad_perm:[2,3,0,1] row_mask:0xf bank_mask:0xf
	v_cmp_gt_f32_e32 vcc, v18, v19
	v_cndmask_b32_e32 v18, v19, v18, vcc
	s_nop 1
	v_mov_b32_dpp v19, v18 row_ror:4 row_mask:0xf bank_mask:0xf
	v_cmp_gt_f32_e32 vcc, v18, v19
	v_cndmask_b32_e32 v18, v19, v18, vcc
	s_nop 1
	v_mov_b32_dpp v19, v18 row_ror:8 row_mask:0xf bank_mask:0xf
	v_cmp_gt_f32_e32 vcc, v18, v19
	v_cndmask_b32_e32 v18, v19, v18, vcc
	s_nop 1
	v_mov_b32_dpp v19, v18 row_bcast:15 row_mask:0xf bank_mask:0xf
	v_cmp_gt_f32_e32 vcc, v18, v19
	v_cndmask_b32_e32 v18, v19, v18, vcc
	s_nop 1
	v_mov_b32_dpp v19, v18 row_bcast:31 row_mask:0xf bank_mask:0xf
	v_cmp_gt_f32_e32 vcc, v18, v19
	v_cndmask_b32_e32 v18, v19, v18, vcc
	ds_bpermute_b32 v18, v28, v18
	s_and_saveexec_b64 s[6:7], s[0:1]
	s_xor_b64 s[6:7], exec, s[6:7]
	s_cbranch_execz .LBB166_15
; %bb.14:                               ;   in Loop: Header=BB166_3 Depth=1
	s_waitcnt lgkmcnt(0)
	ds_write_b32 v29, v18
.LBB166_15:                             ;   in Loop: Header=BB166_3 Depth=1
	s_or_b64 exec, exec, s[6:7]
	s_waitcnt lgkmcnt(0)
	s_barrier
	s_and_saveexec_b64 s[6:7], s[2:3]
	s_cbranch_execz .LBB166_17
; %bb.16:                               ;   in Loop: Header=BB166_3 Depth=1
	ds_read_b32 v18, v30
	s_waitcnt lgkmcnt(0)
	ds_bpermute_b32 v19, v31, v18
	s_waitcnt lgkmcnt(0)
	v_cmp_lt_f32_e32 vcc, v18, v19
	v_cndmask_b32_e32 v18, v18, v19, vcc
	ds_bpermute_b32 v19, v32, v18
	s_waitcnt lgkmcnt(0)
	v_cmp_lt_f32_e32 vcc, v18, v19
	v_cndmask_b32_e32 v18, v18, v19, vcc
.LBB166_17:                             ;   in Loop: Header=BB166_3 Depth=1
	s_or_b64 exec, exec, s[6:7]
	v_max_f32_e64 v19, |v0|, |v0|
	v_max_f32_e32 v19, 0xff7fffff, v19
	s_nop 1
	v_mov_b32_dpp v43, v19 quad_perm:[1,0,3,2] row_mask:0xf bank_mask:0xf
	v_cmp_gt_f32_e32 vcc, v19, v43
	v_cndmask_b32_e32 v19, v43, v19, vcc
	s_nop 1
	v_mov_b32_dpp v43, v19 quad_perm:[2,3,0,1] row_mask:0xf bank_mask:0xf
	v_cmp_gt_f32_e32 vcc, v19, v43
	v_cndmask_b32_e32 v19, v43, v19, vcc
	s_nop 1
	v_mov_b32_dpp v43, v19 row_ror:4 row_mask:0xf bank_mask:0xf
	v_cmp_gt_f32_e32 vcc, v19, v43
	v_cndmask_b32_e32 v19, v43, v19, vcc
	s_nop 1
	v_mov_b32_dpp v43, v19 row_ror:8 row_mask:0xf bank_mask:0xf
	v_cmp_gt_f32_e32 vcc, v19, v43
	v_cndmask_b32_e32 v19, v43, v19, vcc
	s_nop 1
	v_mov_b32_dpp v43, v19 row_bcast:15 row_mask:0xf bank_mask:0xf
	v_cmp_gt_f32_e32 vcc, v19, v43
	v_cndmask_b32_e32 v19, v43, v19, vcc
	s_nop 1
	v_mov_b32_dpp v43, v19 row_bcast:31 row_mask:0xf bank_mask:0xf
	v_cmp_gt_f32_e32 vcc, v19, v43
	v_cndmask_b32_e32 v19, v43, v19, vcc
	ds_bpermute_b32 v19, v28, v19
	s_and_saveexec_b64 s[6:7], s[0:1]
	s_cbranch_execz .LBB166_19
; %bb.18:                               ;   in Loop: Header=BB166_3 Depth=1
	s_waitcnt lgkmcnt(0)
	ds_write_b32 v33, v19
.LBB166_19:                             ;   in Loop: Header=BB166_3 Depth=1
	s_or_b64 exec, exec, s[6:7]
	s_waitcnt lgkmcnt(0)
	s_barrier
	s_and_saveexec_b64 s[6:7], s[2:3]
	s_cbranch_execz .LBB166_21
; %bb.20:                               ;   in Loop: Header=BB166_3 Depth=1
	ds_read_b32 v19, v34
	s_waitcnt lgkmcnt(0)
	ds_bpermute_b32 v43, v31, v19
	s_waitcnt lgkmcnt(0)
	v_cmp_lt_f32_e32 vcc, v19, v43
	v_cndmask_b32_e32 v19, v19, v43, vcc
	ds_bpermute_b32 v43, v32, v19
	s_waitcnt lgkmcnt(0)
	v_cmp_lt_f32_e32 vcc, v19, v43
	v_cndmask_b32_e32 v19, v19, v43, vcc
.LBB166_21:                             ;   in Loop: Header=BB166_3 Depth=1
	s_or_b64 exec, exec, s[6:7]
	v_max_f32_e64 v43, |v17|, |v17|
	v_max_f32_e32 v43, 0xff7fffff, v43
	s_nop 1
	v_mov_b32_dpp v45, v43 quad_perm:[1,0,3,2] row_mask:0xf bank_mask:0xf
	v_cmp_gt_f32_e32 vcc, v43, v45
	v_cndmask_b32_e32 v43, v45, v43, vcc
	s_nop 1
	v_mov_b32_dpp v45, v43 quad_perm:[2,3,0,1] row_mask:0xf bank_mask:0xf
	v_cmp_gt_f32_e32 vcc, v43, v45
	v_cndmask_b32_e32 v43, v45, v43, vcc
	s_nop 1
	v_mov_b32_dpp v45, v43 row_ror:4 row_mask:0xf bank_mask:0xf
	v_cmp_gt_f32_e32 vcc, v43, v45
	v_cndmask_b32_e32 v43, v45, v43, vcc
	s_nop 1
	v_mov_b32_dpp v45, v43 row_ror:8 row_mask:0xf bank_mask:0xf
	v_cmp_gt_f32_e32 vcc, v43, v45
	v_cndmask_b32_e32 v43, v45, v43, vcc
	s_nop 1
	v_mov_b32_dpp v45, v43 row_bcast:15 row_mask:0xf bank_mask:0xf
	v_cmp_gt_f32_e32 vcc, v43, v45
	v_cndmask_b32_e32 v43, v45, v43, vcc
	s_nop 1
	v_mov_b32_dpp v45, v43 row_bcast:31 row_mask:0xf bank_mask:0xf
	v_cmp_gt_f32_e32 vcc, v43, v45
	v_cndmask_b32_e32 v43, v45, v43, vcc
	ds_bpermute_b32 v43, v28, v43
	s_and_saveexec_b64 s[6:7], s[0:1]
	s_cbranch_execz .LBB166_23
; %bb.22:                               ;   in Loop: Header=BB166_3 Depth=1
	s_waitcnt lgkmcnt(0)
	ds_write_b32 v35, v43
.LBB166_23:                             ;   in Loop: Header=BB166_3 Depth=1
	s_or_b64 exec, exec, s[6:7]
	s_waitcnt lgkmcnt(0)
	s_barrier
	s_and_saveexec_b64 s[6:7], s[2:3]
	s_cbranch_execz .LBB166_25
; %bb.24:                               ;   in Loop: Header=BB166_3 Depth=1
	ds_read_b32 v43, v36
	s_waitcnt lgkmcnt(0)
	ds_bpermute_b32 v45, v31, v43
	s_waitcnt lgkmcnt(0)
	v_cmp_lt_f32_e32 vcc, v43, v45
	v_cndmask_b32_e32 v43, v43, v45, vcc
	ds_bpermute_b32 v45, v32, v43
	s_waitcnt lgkmcnt(0)
	v_cmp_lt_f32_e32 vcc, v43, v45
	v_cndmask_b32_e32 v43, v43, v45, vcc
.LBB166_25:                             ;   in Loop: Header=BB166_3 Depth=1
	s_or_b64 exec, exec, s[6:7]
	s_and_saveexec_b64 s[6:7], s[4:5]
	s_cbranch_execz .LBB166_27
; %bb.26:                               ;   in Loop: Header=BB166_3 Depth=1
	ds_write_b64 v23, v[18:19] offset:2056
	ds_write_b32 v23, v43 offset:4120
.LBB166_27:                             ;   in Loop: Header=BB166_3 Depth=1
	s_or_b64 exec, exec, s[6:7]
	s_waitcnt lgkmcnt(0)
	s_barrier
	s_and_saveexec_b64 s[6:7], s[12:13]
	s_xor_b64 s[6:7], exec, s[6:7]
	s_cbranch_execz .LBB166_29
; %bb.28:                               ;   in Loop: Header=BB166_3 Depth=1
	ds_read_b64 v[18:19], v23 offset:2056
	ds_read_b32 v43, v23 offset:4120
.LBB166_29:                             ;   in Loop: Header=BB166_3 Depth=1
	s_andn2_saveexec_b64 s[6:7], s[6:7]
	s_cbranch_execz .LBB166_31
; %bb.30:                               ;   in Loop: Header=BB166_3 Depth=1
	s_lshr_b32 s11, s14, 6
	s_lshr_b32 s10, s10, 6
	v_mov_b32_e32 v45, s11
	s_and_b32 s10, s10, 0x3fffffc
	s_waitcnt lgkmcnt(1)
	global_store_dword v45, v18, s[36:37]
	global_store_dword v45, v19, s[38:39]
	v_mov_b32_e32 v45, s10
	s_waitcnt lgkmcnt(0)
	global_store_dword v45, v43, s[36:37]
.LBB166_31:                             ;   in Loop: Header=BB166_3 Depth=1
	s_or_b64 exec, exec, s[6:7]
	s_lshl_b64 s[6:7], s[14:15], 1
	s_add_u32 s40, s16, s6
	s_addc_u32 s41, s17, s7
	v_mov_b32_e32 v47, 0
	v_lshlrev_b32_e32 v46, 1, v12
	v_lshlrev_b32_e32 v45, 1, v14
	s_waitcnt lgkmcnt(0)
	s_barrier
	s_and_saveexec_b64 s[6:7], s[8:9]
	s_cbranch_execz .LBB166_33
; %bb.32:                               ;   in Loop: Header=BB166_3 Depth=1
	v_mov_b32_e32 v47, s41
	v_add_co_u32_e32 v48, vcc, s40, v46
	v_addc_co_u32_e32 v47, vcc, 0, v47, vcc
	v_add_co_u32_e32 v48, vcc, v48, v45
	v_addc_co_u32_e32 v49, vcc, 0, v47, vcc
	global_load_ushort v47, v[48:49], off
.LBB166_33:                             ;   in Loop: Header=BB166_3 Depth=1
	s_or_b64 exec, exec, s[6:7]
	s_waitcnt vmcnt(0)
	ds_write_b16 v26, v47
	; wave barrier
	ds_read_u16 v47, v26
	v_cmp_class_f16_e64 s[6:7], v44, s34
	s_and_saveexec_b64 s[10:11], s[6:7]
	s_cbranch_execz .LBB166_36
; %bb.34:                               ;   in Loop: Header=BB166_3 Depth=1
	v_mul_f32_e32 v44, 0x4f800000, v0
	v_cmp_gt_f32_e32 vcc, s43, v0
	v_cndmask_b32_e32 v44, v0, v44, vcc
	v_sqrt_f32_e32 v48, v44
	v_add_u32_e32 v49, -1, v48
	v_fma_f32 v51, -v49, v48, v44
	v_add_u32_e32 v50, 1, v48
	v_cmp_ge_f32_e64 s[6:7], 0, v51
	v_cndmask_b32_e64 v49, v48, v49, s[6:7]
	v_fma_f32 v48, -v50, v48, v44
	v_cmp_lt_f32_e64 s[6:7], 0, v48
	v_cndmask_b32_e64 v48, v49, v50, s[6:7]
	v_mul_f32_e32 v49, 0x37800000, v48
	v_cndmask_b32_e32 v48, v48, v49, vcc
	v_cmp_class_f32_e32 vcc, v44, v15
	v_cndmask_b32_e32 v44, v48, v44, vcc
	v_div_scale_f32 v49, s[6:7], v20, v20, v44
	v_rcp_f32_e32 v50, v49
	v_mul_f32_e32 v48, s27, v17
	v_fma_f32 v51, -v49, v50, 1.0
	v_fmac_f32_e32 v50, v51, v50
	v_div_scale_f32 v51, vcc, v44, v20, v44
	v_mul_f32_e32 v52, v51, v50
	v_fma_f32 v53, -v49, v52, v51
	v_fmac_f32_e32 v52, v53, v50
	v_div_scale_f32 v53, s[6:7], v21, v21, v1
	v_rcp_f32_e32 v54, v53
	v_fma_f32 v49, -v49, v52, v51
	v_div_fmas_f32 v49, v49, v50, v52
	v_div_fixup_f32 v51, v49, v20, v44
	v_fma_f32 v44, -v53, v54, 1.0
	v_fmac_f32_e32 v54, v44, v54
	v_div_scale_f32 v44, vcc, v1, v21, v1
	v_mul_f32_e32 v49, v44, v54
	v_fma_f32 v50, -v53, v49, v44
	v_fmac_f32_e32 v49, v50, v54
	v_fma_f32 v44, -v53, v49, v44
	v_div_fmas_f32 v44, v44, v54, v49
	v_div_fixup_f32 v50, v44, v21, v1
	v_mov_b32_e32 v49, s28
	v_pk_add_f32 v[48:49], v[50:51], v[48:49]
	v_div_scale_f32 v44, s[6:7], v49, v49, v48
	v_rcp_f32_e32 v50, v44
	v_fma_f32 v51, -v44, v50, 1.0
	v_fmac_f32_e32 v50, v51, v50
	v_div_scale_f32 v51, vcc, v48, v49, v48
	v_mul_f32_e32 v52, v51, v50
	v_fma_f32 v53, -v44, v52, v51
	v_fmac_f32_e32 v52, v53, v50
	v_fma_f32 v44, -v44, v52, v51
	v_div_fmas_f32 v44, v44, v50, v52
	v_div_fixup_f32 v44, v44, v49, v48
	s_andn2_b64 vcc, exec, s[18:19]
	s_waitcnt lgkmcnt(0)
	v_fma_mixlo_f16 v47, -v44, s30, v47 op_sel_hi:[0,0,1]
	s_cbranch_vccnz .LBB166_36
; %bb.35:                               ;   in Loop: Header=BB166_3 Depth=1
	v_fma_mixlo_f16 v47, v37, v47, 0 op_sel_hi:[0,1,0]
.LBB166_36:                             ;   in Loop: Header=BB166_3 Depth=1
	s_or_b64 exec, exec, s[10:11]
	s_waitcnt lgkmcnt(0)
	s_barrier
	ds_write_b16 v26, v47
	; wave barrier
	s_and_saveexec_b64 s[6:7], s[8:9]
	s_cbranch_execz .LBB166_38
; %bb.37:                               ;   in Loop: Header=BB166_3 Depth=1
	ds_read_u16 v48, v26
	v_mov_b32_e32 v44, s41
	v_add_co_u32_e32 v46, vcc, s40, v46
	v_addc_co_u32_e32 v47, vcc, 0, v44, vcc
	v_add_co_u32_e32 v44, vcc, v46, v45
	v_addc_co_u32_e32 v45, vcc, 0, v47, vcc
	s_waitcnt lgkmcnt(0)
	global_store_short v[44:45], v48, off
.LBB166_38:                             ;   in Loop: Header=BB166_3 Depth=1
	s_or_b64 exec, exec, s[6:7]
	v_div_scale_f32 v44, s[6:7], v18, v18, v1
	v_rcp_f32_e32 v45, v44
	v_div_scale_f32 v46, vcc, v1, v18, v1
	v_mov_b32_e32 v52, -16
	v_fma_f32 v47, -v44, v45, 1.0
	v_fmac_f32_e32 v45, v47, v45
	v_mul_f32_e32 v47, v46, v45
	v_fma_f32 v48, -v44, v47, v46
	v_fmac_f32_e32 v47, v48, v45
	v_fma_f32 v44, -v44, v47, v46
	v_div_fmas_f32 v44, v44, v45, v47
	v_div_fixup_f32 v44, v44, v18, v1
	v_cmp_lt_f32_e32 vcc, v7, v44
	v_cndmask_b32_e64 v18, 0, 1, vcc
	v_lshlrev_b32_e32 v18, 1, v18
	v_cmp_eq_u32_e64 s[6:7], 1, v18
	v_cndmask_b32_e64 v45, v6, v7, s[6:7]
	v_cmp_eq_u32_e64 s[6:7], 2, v18
	v_cndmask_b32_e64 v51, v45, v2, s[6:7]
	v_cmp_lt_f32_e64 s[10:11], v51, v44
	v_cndmask_b32_e32 v50, 63, v39, vcc
	v_cndmask_b32_e64 v18, v41, 32, s[10:11]
	v_add_u32_e32 v46, v18, v50
	v_lshl_add_u32 v47, v46, 2, v5
	ds_read_b32 v18, v47
	v_cndmask_b32_e32 v45, 0, v40, vcc
	v_cndmask_b32_e32 v49, -1.0, v7, vcc
	v_cndmask_b32_e64 v48, v45, v50, s[10:11]
	v_cndmask_b32_e64 v49, v49, v51, s[10:11]
	s_waitcnt lgkmcnt(0)
	v_cmp_lt_f32_e64 s[6:7], v18, v44
	v_mov_b32_e32 v45, v46
	s_and_saveexec_b64 s[40:41], s[6:7]
; %bb.39:                               ;   in Loop: Header=BB166_3 Depth=1
	v_cndmask_b32_e32 v45, v40, v42, vcc
	v_cndmask_b32_e64 v48, v7, 1.0, vcc
	v_cndmask_b32_e64 v45, v50, v45, s[10:11]
	v_cndmask_b32_e64 v50, v51, v48, s[10:11]
	v_mov_b32_e32 v52, 16
	v_mov_b32_e32 v48, v46
	;; [unrolled: 1-line block ×4, first 2 shown]
; %bb.40:                               ;   in Loop: Header=BB166_3 Depth=1
	s_or_b64 exec, exec, s[40:41]
	v_lshl_add_u32 v47, v52, 2, v47
	ds_read_b32 v53, v47
	v_add_u32_e32 v54, v52, v46
	v_mov_b32_e32 v52, -4
	s_waitcnt lgkmcnt(0)
	v_cmp_lt_f32_e32 vcc, v53, v44
	v_cndmask_b32_e64 v55, -8, 8, vcc
	v_lshl_add_u32 v51, v55, 2, v47
	ds_read_b32 v46, v51
	v_cndmask_b32_e32 v50, v49, v53, vcc
	v_add_u32_e32 v49, v55, v54
	v_cndmask_b32_e32 v47, v48, v54, vcc
	v_mov_b32_e32 v48, v49
	s_waitcnt lgkmcnt(0)
	v_cmp_lt_f32_e64 s[6:7], v46, v44
	s_and_saveexec_b64 s[10:11], s[6:7]
; %bb.41:                               ;   in Loop: Header=BB166_3 Depth=1
	v_cndmask_b32_e32 v18, v53, v18, vcc
	v_cndmask_b32_e32 v48, v54, v45, vcc
	v_mov_b32_e32 v52, 4
	v_mov_b32_e32 v47, v49
	;; [unrolled: 1-line block ×4, first 2 shown]
; %bb.42:                               ;   in Loop: Header=BB166_3 Depth=1
	s_or_b64 exec, exec, s[10:11]
	v_lshl_add_u32 v18, v52, 2, v51
	ds_read_b32 v53, v18
	v_add_u32_e32 v54, v52, v49
	v_mov_b32_e32 v52, -1
	s_waitcnt lgkmcnt(0)
	v_cmp_lt_f32_e32 vcc, v53, v44
	v_cndmask_b32_e64 v51, -2, 2, vcc
	v_lshl_add_u32 v18, v51, 2, v18
	ds_read_b32 v45, v18
	v_add_u32_e32 v51, v51, v54
	v_cndmask_b32_e32 v49, v47, v54, vcc
	v_cndmask_b32_e32 v50, v50, v53, vcc
	v_mov_b32_e32 v47, v51
	s_waitcnt lgkmcnt(0)
	v_cmp_lt_f32_e64 s[6:7], v45, v44
	s_and_saveexec_b64 s[10:11], s[6:7]
; %bb.43:                               ;   in Loop: Header=BB166_3 Depth=1
	v_cndmask_b32_e32 v46, v53, v46, vcc
	v_cndmask_b32_e32 v47, v54, v48, vcc
	v_mov_b32_e32 v52, 1
	v_mov_b32_e32 v49, v51
	;; [unrolled: 1-line block ×4, first 2 shown]
; %bb.44:                               ;   in Loop: Header=BB166_3 Depth=1
	s_or_b64 exec, exec, s[10:11]
	v_lshl_add_u32 v18, v52, 2, v18
	ds_read_b32 v48, v18
	v_add_u32_e32 v46, v52, v51
                                        ; implicit-def: $vgpr18
	s_waitcnt lgkmcnt(0)
	v_cmp_nlt_f32_e32 vcc, v48, v44
	s_and_saveexec_b64 s[6:7], vcc
	s_xor_b64 s[6:7], exec, s[6:7]
; %bb.45:                               ;   in Loop: Header=BB166_3 Depth=1
	v_add_f32_e32 v18, v50, v48
	v_mul_f32_e32 v18, 0.5, v18
	v_cmp_gt_f32_e32 vcc, v18, v44
	v_cndmask_b32_e32 v18, v46, v49, vcc
                                        ; implicit-def: $vgpr45
                                        ; implicit-def: $vgpr48
                                        ; implicit-def: $vgpr44
                                        ; implicit-def: $vgpr46
                                        ; implicit-def: $vgpr47
; %bb.46:                               ;   in Loop: Header=BB166_3 Depth=1
	s_andn2_saveexec_b64 s[6:7], s[6:7]
; %bb.47:                               ;   in Loop: Header=BB166_3 Depth=1
	v_add_f32_e32 v18, v45, v48
	v_mul_f32_e32 v18, 0.5, v18
	v_cmp_lt_f32_e32 vcc, v18, v44
	v_cndmask_b32_e32 v18, v46, v47, vcc
; %bb.48:                               ;   in Loop: Header=BB166_3 Depth=1
	s_or_b64 exec, exec, s[6:7]
	v_div_scale_f32 v44, s[6:7], v19, v19, v0
	v_rcp_f32_e32 v45, v44
	v_div_scale_f32 v46, vcc, v0, v19, v0
	v_mov_b32_e32 v51, -16
	v_fma_f32 v47, -v44, v45, 1.0
	v_fmac_f32_e32 v45, v47, v45
	v_mul_f32_e32 v47, v46, v45
	v_fma_f32 v48, -v44, v47, v46
	v_fmac_f32_e32 v47, v48, v45
	v_fma_f32 v44, -v44, v47, v46
	v_div_fmas_f32 v44, v44, v45, v47
	v_div_fixup_f32 v19, v44, v19, v0
	v_cmp_lt_f32_e32 vcc, v9, v19
	v_cndmask_b32_e64 v0, 0, 1, vcc
	v_lshlrev_b32_e32 v0, 1, v0
	v_cmp_eq_u32_e64 s[6:7], 1, v0
	v_cndmask_b32_e64 v44, v8, v9, s[6:7]
	v_cmp_eq_u32_e64 s[6:7], 2, v0
	v_cndmask_b32_e64 v50, v44, v4, s[6:7]
	v_cmp_lt_f32_e64 s[10:11], v50, v19
	v_cndmask_b32_e32 v49, 63, v39, vcc
	v_cndmask_b32_e64 v0, v41, 32, s[10:11]
	v_add_u32_e32 v45, v0, v49
	v_lshl_add_u32 v46, v45, 2, v13
	ds_read_b32 v0, v46
	v_cndmask_b32_e32 v44, 0, v40, vcc
	v_cndmask_b32_e32 v48, 0, v9, vcc
	v_cndmask_b32_e64 v47, v44, v49, s[10:11]
	v_cndmask_b32_e64 v48, v48, v50, s[10:11]
	s_waitcnt lgkmcnt(0)
	v_cmp_lt_f32_e64 s[6:7], v0, v19
	v_mov_b32_e32 v44, v45
	s_and_saveexec_b64 s[40:41], s[6:7]
; %bb.49:                               ;   in Loop: Header=BB166_3 Depth=1
	v_cndmask_b32_e32 v44, v40, v42, vcc
	v_cndmask_b32_e64 v47, v9, 1.0, vcc
	v_cndmask_b32_e64 v44, v49, v44, s[10:11]
	v_cndmask_b32_e64 v49, v50, v47, s[10:11]
	v_mov_b32_e32 v51, 16
	v_mov_b32_e32 v47, v45
	;; [unrolled: 1-line block ×4, first 2 shown]
; %bb.50:                               ;   in Loop: Header=BB166_3 Depth=1
	s_or_b64 exec, exec, s[40:41]
	v_lshl_add_u32 v46, v51, 2, v46
	ds_read_b32 v52, v46
	v_add_u32_e32 v53, v51, v45
	v_mov_b32_e32 v51, -4
	s_waitcnt lgkmcnt(0)
	v_cmp_lt_f32_e32 vcc, v52, v19
	v_cndmask_b32_e64 v54, -8, 8, vcc
	v_lshl_add_u32 v50, v54, 2, v46
	ds_read_b32 v45, v50
	v_cndmask_b32_e32 v49, v48, v52, vcc
	v_add_u32_e32 v48, v54, v53
	v_cndmask_b32_e32 v46, v47, v53, vcc
	v_mov_b32_e32 v47, v48
	s_waitcnt lgkmcnt(0)
	v_cmp_lt_f32_e64 s[6:7], v45, v19
	s_and_saveexec_b64 s[10:11], s[6:7]
; %bb.51:                               ;   in Loop: Header=BB166_3 Depth=1
	v_cndmask_b32_e32 v0, v52, v0, vcc
	v_cndmask_b32_e32 v47, v53, v44, vcc
	v_mov_b32_e32 v51, 4
	v_mov_b32_e32 v46, v48
	;; [unrolled: 1-line block ×4, first 2 shown]
; %bb.52:                               ;   in Loop: Header=BB166_3 Depth=1
	s_or_b64 exec, exec, s[10:11]
	v_lshl_add_u32 v0, v51, 2, v50
	ds_read_b32 v52, v0
	v_add_u32_e32 v53, v51, v48
	v_mov_b32_e32 v51, -1
	s_waitcnt lgkmcnt(0)
	v_cmp_lt_f32_e32 vcc, v52, v19
	v_cndmask_b32_e64 v50, -2, 2, vcc
	v_lshl_add_u32 v0, v50, 2, v0
	ds_read_b32 v44, v0
	v_add_u32_e32 v50, v50, v53
	v_cndmask_b32_e32 v48, v46, v53, vcc
	v_cndmask_b32_e32 v49, v49, v52, vcc
	v_mov_b32_e32 v46, v50
	s_waitcnt lgkmcnt(0)
	v_cmp_lt_f32_e64 s[6:7], v44, v19
	s_and_saveexec_b64 s[10:11], s[6:7]
; %bb.53:                               ;   in Loop: Header=BB166_3 Depth=1
	v_cndmask_b32_e32 v45, v52, v45, vcc
	v_cndmask_b32_e32 v46, v53, v47, vcc
	v_mov_b32_e32 v51, 1
	v_mov_b32_e32 v48, v50
	;; [unrolled: 1-line block ×4, first 2 shown]
; %bb.54:                               ;   in Loop: Header=BB166_3 Depth=1
	s_or_b64 exec, exec, s[10:11]
	v_lshl_add_u32 v0, v51, 2, v0
	ds_read_b32 v47, v0
	v_add_u32_e32 v45, v51, v50
                                        ; implicit-def: $vgpr0
	s_waitcnt lgkmcnt(0)
	v_cmp_nlt_f32_e32 vcc, v47, v19
	s_and_saveexec_b64 s[6:7], vcc
	s_xor_b64 s[6:7], exec, s[6:7]
; %bb.55:                               ;   in Loop: Header=BB166_3 Depth=1
	v_add_f32_e32 v0, v49, v47
	v_mul_f32_e32 v0, 0.5, v0
	v_cmp_gt_f32_e32 vcc, v0, v19
	v_cndmask_b32_e32 v0, v45, v48, vcc
                                        ; implicit-def: $vgpr44
                                        ; implicit-def: $vgpr47
                                        ; implicit-def: $vgpr19
                                        ; implicit-def: $vgpr45
                                        ; implicit-def: $vgpr46
; %bb.56:                               ;   in Loop: Header=BB166_3 Depth=1
	s_andn2_saveexec_b64 s[6:7], s[6:7]
; %bb.57:                               ;   in Loop: Header=BB166_3 Depth=1
	v_add_f32_e32 v0, v44, v47
	v_mul_f32_e32 v0, 0.5, v0
	v_cmp_lt_f32_e32 vcc, v0, v19
	v_cndmask_b32_e32 v0, v45, v46, vcc
; %bb.58:                               ;   in Loop: Header=BB166_3 Depth=1
	s_or_b64 exec, exec, s[6:7]
	v_lshlrev_b32_e32 v19, 2, v18
	v_mad_u32_u24 v19, v3, s42, v19
	ds_read_b32 v19, v19
	s_waitcnt lgkmcnt(0)
	v_xor_b32_e32 v19, v19, v1
	v_cmp_gt_i32_e32 vcc, 0, v19
	s_and_saveexec_b64 s[6:7], vcc
	s_cbranch_execz .LBB166_64
; %bb.59:                               ;   in Loop: Header=BB166_3 Depth=1
	v_cmp_nlt_f32_e32 vcc, 0, v1
	s_and_saveexec_b64 s[10:11], vcc
	s_xor_b64 s[10:11], exec, s[10:11]
; %bb.60:                               ;   in Loop: Header=BB166_3 Depth=1
	v_add_u16_e32 v18, -1, v18
; %bb.61:                               ;   in Loop: Header=BB166_3 Depth=1
	s_andn2_saveexec_b64 s[10:11], s[10:11]
; %bb.62:                               ;   in Loop: Header=BB166_3 Depth=1
	v_add_u16_e32 v18, 1, v18
; %bb.63:                               ;   in Loop: Header=BB166_3 Depth=1
	s_or_b64 exec, exec, s[10:11]
.LBB166_64:                             ;   in Loop: Header=BB166_3 Depth=1
	s_or_b64 exec, exec, s[6:7]
	v_div_scale_f32 v1, s[6:7], v43, v43, v17
	v_rcp_f32_e32 v19, v1
	v_div_scale_f32 v44, vcc, v17, v43, v17
	v_mov_b32_e32 v50, -16
	v_fma_f32 v45, -v1, v19, 1.0
	v_fmac_f32_e32 v19, v45, v19
	v_mul_f32_e32 v45, v44, v19
	v_fma_f32 v46, -v1, v45, v44
	v_fmac_f32_e32 v45, v46, v19
	v_fma_f32 v1, -v1, v45, v44
	v_div_fmas_f32 v1, v1, v19, v45
	v_div_fixup_f32 v1, v1, v43, v17
	v_cmp_lt_f32_e32 vcc, v7, v1
	v_cndmask_b32_e64 v19, 0, 1, vcc
	v_lshlrev_b32_e32 v19, 1, v19
	v_cmp_eq_u32_e64 s[6:7], 1, v19
	v_cndmask_b32_e64 v43, v6, v7, s[6:7]
	v_cmp_eq_u32_e64 s[6:7], 2, v19
	v_cndmask_b32_e64 v49, v43, v2, s[6:7]
	v_cmp_lt_f32_e64 s[10:11], v49, v1
	v_cndmask_b32_e32 v48, 63, v39, vcc
	v_cndmask_b32_e64 v19, v41, 32, s[10:11]
	v_add_u32_e32 v44, v19, v48
	v_lshl_add_u32 v45, v44, 2, v5
	ds_read_b32 v19, v45
	v_cndmask_b32_e32 v43, 0, v40, vcc
	v_cndmask_b32_e32 v47, -1.0, v7, vcc
	v_cndmask_b32_e64 v46, v43, v48, s[10:11]
	v_cndmask_b32_e64 v47, v47, v49, s[10:11]
	s_waitcnt lgkmcnt(0)
	v_cmp_lt_f32_e64 s[6:7], v19, v1
	v_mov_b32_e32 v43, v44
	s_and_saveexec_b64 s[40:41], s[6:7]
; %bb.65:                               ;   in Loop: Header=BB166_3 Depth=1
	v_cndmask_b32_e32 v43, v40, v42, vcc
	v_cndmask_b32_e64 v46, v7, 1.0, vcc
	v_cndmask_b32_e64 v43, v48, v43, s[10:11]
	v_cndmask_b32_e64 v48, v49, v46, s[10:11]
	v_mov_b32_e32 v50, 16
	v_mov_b32_e32 v46, v44
	v_mov_b32_e32 v47, v19
	v_mov_b32_e32 v19, v48
; %bb.66:                               ;   in Loop: Header=BB166_3 Depth=1
	s_or_b64 exec, exec, s[40:41]
	v_lshl_add_u32 v45, v50, 2, v45
	ds_read_b32 v51, v45
	v_add_u32_e32 v52, v50, v44
	v_mov_b32_e32 v50, -4
	s_waitcnt lgkmcnt(0)
	v_cmp_lt_f32_e32 vcc, v51, v1
	v_cndmask_b32_e64 v53, -8, 8, vcc
	v_lshl_add_u32 v49, v53, 2, v45
	ds_read_b32 v44, v49
	v_cndmask_b32_e32 v48, v47, v51, vcc
	v_add_u32_e32 v47, v53, v52
	v_cndmask_b32_e32 v45, v46, v52, vcc
	v_mov_b32_e32 v46, v47
	s_waitcnt lgkmcnt(0)
	v_cmp_lt_f32_e64 s[6:7], v44, v1
	s_and_saveexec_b64 s[10:11], s[6:7]
; %bb.67:                               ;   in Loop: Header=BB166_3 Depth=1
	v_cndmask_b32_e32 v19, v51, v19, vcc
	v_cndmask_b32_e32 v46, v52, v43, vcc
	v_mov_b32_e32 v50, 4
	v_mov_b32_e32 v45, v47
	;; [unrolled: 1-line block ×4, first 2 shown]
; %bb.68:                               ;   in Loop: Header=BB166_3 Depth=1
	s_or_b64 exec, exec, s[10:11]
	v_lshl_add_u32 v19, v50, 2, v49
	ds_read_b32 v51, v19
	v_add_u32_e32 v52, v50, v47
	v_mov_b32_e32 v50, -1
	s_waitcnt lgkmcnt(0)
	v_cmp_lt_f32_e32 vcc, v51, v1
	v_cndmask_b32_e64 v49, -2, 2, vcc
	v_lshl_add_u32 v19, v49, 2, v19
	ds_read_b32 v43, v19
	v_add_u32_e32 v49, v49, v52
	v_cndmask_b32_e32 v47, v45, v52, vcc
	v_cndmask_b32_e32 v48, v48, v51, vcc
	v_mov_b32_e32 v45, v49
	s_waitcnt lgkmcnt(0)
	v_cmp_lt_f32_e64 s[6:7], v43, v1
	s_and_saveexec_b64 s[10:11], s[6:7]
; %bb.69:                               ;   in Loop: Header=BB166_3 Depth=1
	v_cndmask_b32_e32 v44, v51, v44, vcc
	v_cndmask_b32_e32 v45, v52, v46, vcc
	v_mov_b32_e32 v50, 1
	v_mov_b32_e32 v47, v49
	;; [unrolled: 1-line block ×4, first 2 shown]
; %bb.70:                               ;   in Loop: Header=BB166_3 Depth=1
	s_or_b64 exec, exec, s[10:11]
	v_lshl_add_u32 v19, v50, 2, v19
	ds_read_b32 v46, v19
	v_add_u32_e32 v44, v50, v49
                                        ; implicit-def: $vgpr19
	s_waitcnt lgkmcnt(0)
	v_cmp_nlt_f32_e32 vcc, v46, v1
	s_and_saveexec_b64 s[6:7], vcc
	s_xor_b64 s[6:7], exec, s[6:7]
; %bb.71:                               ;   in Loop: Header=BB166_3 Depth=1
	v_add_f32_e32 v19, v48, v46
	v_mul_f32_e32 v19, 0.5, v19
	v_cmp_gt_f32_e32 vcc, v19, v1
	v_cndmask_b32_e32 v19, v44, v47, vcc
                                        ; implicit-def: $vgpr43
                                        ; implicit-def: $vgpr46
                                        ; implicit-def: $vgpr1
                                        ; implicit-def: $vgpr44
                                        ; implicit-def: $vgpr45
; %bb.72:                               ;   in Loop: Header=BB166_3 Depth=1
	s_andn2_saveexec_b64 s[6:7], s[6:7]
; %bb.73:                               ;   in Loop: Header=BB166_3 Depth=1
	v_add_f32_e32 v19, v43, v46
	v_mul_f32_e32 v19, 0.5, v19
	v_cmp_lt_f32_e32 vcc, v19, v1
	v_cndmask_b32_e32 v19, v44, v45, vcc
; %bb.74:                               ;   in Loop: Header=BB166_3 Depth=1
	s_or_b64 exec, exec, s[6:7]
	v_lshlrev_b32_e32 v1, 2, v19
	v_mad_u32_u24 v1, v3, s42, v1
	ds_read_b32 v1, v1
	s_waitcnt lgkmcnt(0)
	s_barrier
	ds_write_b8 v22, v18 offset:4128
	; wave barrier
	s_and_saveexec_b64 s[6:7], s[8:9]
	s_cbranch_execz .LBB166_76
; %bb.75:                               ;   in Loop: Header=BB166_3 Depth=1
	ds_read_u8 v46, v22 offset:4128
	v_mov_b32_e32 v18, s45
	v_add_co_u32_e32 v43, vcc, s44, v12
	v_addc_co_u32_e32 v18, vcc, 0, v18, vcc
	v_add_co_u32_e32 v44, vcc, v43, v14
	v_addc_co_u32_e32 v45, vcc, 0, v18, vcc
	s_waitcnt lgkmcnt(0)
	global_store_byte v[44:45], v46, off
.LBB166_76:                             ;   in Loop: Header=BB166_3 Depth=1
	s_or_b64 exec, exec, s[6:7]
	s_waitcnt lgkmcnt(0)
	s_barrier
	ds_write_b8 v22, v0 offset:4128
	; wave barrier
	s_and_saveexec_b64 s[6:7], s[8:9]
	s_cbranch_execz .LBB166_78
; %bb.77:                               ;   in Loop: Header=BB166_3 Depth=1
	ds_read_u8 v43, v22 offset:4128
	v_mov_b32_e32 v0, s49
	v_add_co_u32_e32 v18, vcc, s47, v12
	v_addc_co_u32_e32 v0, vcc, 0, v0, vcc
	v_add_co_u32_e32 v44, vcc, v18, v14
	v_addc_co_u32_e32 v45, vcc, 0, v0, vcc
	s_waitcnt lgkmcnt(0)
	global_store_byte v[44:45], v43, off
.LBB166_78:                             ;   in Loop: Header=BB166_3 Depth=1
	s_or_b64 exec, exec, s[6:7]
	v_xor_b32_e32 v0, v1, v17
	v_cmp_lt_f32_e32 vcc, 0, v17
	v_cndmask_b32_e64 v1, -1, 1, vcc
	v_ashrrev_i32_e32 v0, 31, v0
	v_and_b32_e32 v0, v0, v1
	v_add_u16_e32 v0, v0, v19
	s_waitcnt lgkmcnt(0)
	s_barrier
	ds_write_b8 v22, v0 offset:4128
	; wave barrier
	s_and_saveexec_b64 s[6:7], s[8:9]
	s_cbranch_execz .LBB166_2
; %bb.79:                               ;   in Loop: Header=BB166_3 Depth=1
	ds_read_u8 v18, v22 offset:4128
	v_mov_b32_e32 v0, s48
	v_add_co_u32_e32 v1, vcc, s46, v12
	v_addc_co_u32_e32 v17, vcc, 0, v0, vcc
	v_add_co_u32_e32 v0, vcc, v1, v14
	v_addc_co_u32_e32 v1, vcc, 0, v17, vcc
	s_waitcnt lgkmcnt(0)
	global_store_byte v[0:1], v18, off
	s_branch .LBB166_2
.LBB166_80:
	s_endpgm
	.section	.rodata,"a",@progbits
	.p2align	6, 0x0
	.amdhsa_kernel _Z35kOptimizerStatic8bit2StateBlockwiseI6__halfLi6ELi256ELi1EEvPT_S2_PhS3_fffffifPfS4_S4_S4_ffbi
		.amdhsa_group_segment_fixed_size 4688
		.amdhsa_private_segment_fixed_size 0
		.amdhsa_kernarg_size 368
		.amdhsa_user_sgpr_count 6
		.amdhsa_user_sgpr_private_segment_buffer 1
		.amdhsa_user_sgpr_dispatch_ptr 0
		.amdhsa_user_sgpr_queue_ptr 0
		.amdhsa_user_sgpr_kernarg_segment_ptr 1
		.amdhsa_user_sgpr_dispatch_id 0
		.amdhsa_user_sgpr_flat_scratch_init 0
		.amdhsa_user_sgpr_kernarg_preload_length 0
		.amdhsa_user_sgpr_kernarg_preload_offset 0
		.amdhsa_user_sgpr_private_segment_size 0
		.amdhsa_uses_dynamic_stack 0
		.amdhsa_system_sgpr_private_segment_wavefront_offset 0
		.amdhsa_system_sgpr_workgroup_id_x 1
		.amdhsa_system_sgpr_workgroup_id_y 0
		.amdhsa_system_sgpr_workgroup_id_z 0
		.amdhsa_system_sgpr_workgroup_info 0
		.amdhsa_system_vgpr_workitem_id 0
		.amdhsa_next_free_vgpr 56
		.amdhsa_next_free_sgpr 50
		.amdhsa_accum_offset 56
		.amdhsa_reserve_vcc 1
		.amdhsa_reserve_flat_scratch 0
		.amdhsa_float_round_mode_32 0
		.amdhsa_float_round_mode_16_64 0
		.amdhsa_float_denorm_mode_32 3
		.amdhsa_float_denorm_mode_16_64 3
		.amdhsa_dx10_clamp 1
		.amdhsa_ieee_mode 1
		.amdhsa_fp16_overflow 0
		.amdhsa_tg_split 0
		.amdhsa_exception_fp_ieee_invalid_op 0
		.amdhsa_exception_fp_denorm_src 0
		.amdhsa_exception_fp_ieee_div_zero 0
		.amdhsa_exception_fp_ieee_overflow 0
		.amdhsa_exception_fp_ieee_underflow 0
		.amdhsa_exception_fp_ieee_inexact 0
		.amdhsa_exception_int_div_zero 0
	.end_amdhsa_kernel
	.section	.text._Z35kOptimizerStatic8bit2StateBlockwiseI6__halfLi6ELi256ELi1EEvPT_S2_PhS3_fffffifPfS4_S4_S4_ffbi,"axG",@progbits,_Z35kOptimizerStatic8bit2StateBlockwiseI6__halfLi6ELi256ELi1EEvPT_S2_PhS3_fffffifPfS4_S4_S4_ffbi,comdat
.Lfunc_end166:
	.size	_Z35kOptimizerStatic8bit2StateBlockwiseI6__halfLi6ELi256ELi1EEvPT_S2_PhS3_fffffifPfS4_S4_S4_ffbi, .Lfunc_end166-_Z35kOptimizerStatic8bit2StateBlockwiseI6__halfLi6ELi256ELi1EEvPT_S2_PhS3_fffffifPfS4_S4_S4_ffbi
                                        ; -- End function
	.section	.AMDGPU.csdata,"",@progbits
; Kernel info:
; codeLenInByte = 6712
; NumSgprs: 54
; NumVgprs: 56
; NumAgprs: 0
; TotalNumVgprs: 56
; ScratchSize: 0
; MemoryBound: 0
; FloatMode: 240
; IeeeMode: 1
; LDSByteSize: 4688 bytes/workgroup (compile time only)
; SGPRBlocks: 6
; VGPRBlocks: 6
; NumSGPRsForWavesPerEU: 54
; NumVGPRsForWavesPerEU: 56
; AccumOffset: 56
; Occupancy: 8
; WaveLimiterHint : 0
; COMPUTE_PGM_RSRC2:SCRATCH_EN: 0
; COMPUTE_PGM_RSRC2:USER_SGPR: 6
; COMPUTE_PGM_RSRC2:TRAP_HANDLER: 0
; COMPUTE_PGM_RSRC2:TGID_X_EN: 1
; COMPUTE_PGM_RSRC2:TGID_Y_EN: 0
; COMPUTE_PGM_RSRC2:TGID_Z_EN: 0
; COMPUTE_PGM_RSRC2:TIDIG_COMP_CNT: 0
; COMPUTE_PGM_RSRC3_GFX90A:ACCUM_OFFSET: 13
; COMPUTE_PGM_RSRC3_GFX90A:TG_SPLIT: 0
	.section	.text._Z35kOptimizerStatic8bit2StateBlockwiseI12hip_bfloat16Li6ELi256ELi1EEvPT_S2_PhS3_fffffifPfS4_S4_S4_ffbi,"axG",@progbits,_Z35kOptimizerStatic8bit2StateBlockwiseI12hip_bfloat16Li6ELi256ELi1EEvPT_S2_PhS3_fffffifPfS4_S4_S4_ffbi,comdat
